;; amdgpu-corpus repo=ROCm/rocFFT kind=compiled arch=gfx906 opt=O3
	.text
	.amdgcn_target "amdgcn-amd-amdhsa--gfx906"
	.amdhsa_code_object_version 6
	.protected	fft_rtc_fwd_len512_factors_8_8_8_wgs_64_tpt_64_halfLds_sp_op_CI_CI_unitstride_sbrr_R2C_dirReg ; -- Begin function fft_rtc_fwd_len512_factors_8_8_8_wgs_64_tpt_64_halfLds_sp_op_CI_CI_unitstride_sbrr_R2C_dirReg
	.globl	fft_rtc_fwd_len512_factors_8_8_8_wgs_64_tpt_64_halfLds_sp_op_CI_CI_unitstride_sbrr_R2C_dirReg
	.p2align	8
	.type	fft_rtc_fwd_len512_factors_8_8_8_wgs_64_tpt_64_halfLds_sp_op_CI_CI_unitstride_sbrr_R2C_dirReg,@function
fft_rtc_fwd_len512_factors_8_8_8_wgs_64_tpt_64_halfLds_sp_op_CI_CI_unitstride_sbrr_R2C_dirReg: ; @fft_rtc_fwd_len512_factors_8_8_8_wgs_64_tpt_64_halfLds_sp_op_CI_CI_unitstride_sbrr_R2C_dirReg
; %bb.0:
	s_load_dwordx4 s[12:15], s[4:5], 0x0
	s_load_dwordx4 s[8:11], s[4:5], 0x58
	;; [unrolled: 1-line block ×3, first 2 shown]
	v_mov_b32_e32 v6, 0
	v_mov_b32_e32 v10, 0
	s_waitcnt lgkmcnt(0)
	v_cmp_lt_u64_e64 s[0:1], s[14:15], 2
	v_mov_b32_e32 v8, s6
	v_mov_b32_e32 v9, v6
	s_and_b64 vcc, exec, s[0:1]
	v_mov_b32_e32 v11, 0
	s_cbranch_vccnz .LBB0_8
; %bb.1:
	s_load_dwordx2 s[0:1], s[4:5], 0x10
	s_add_u32 s2, s18, 8
	s_addc_u32 s3, s19, 0
	s_add_u32 s6, s16, 8
	s_addc_u32 s7, s17, 0
	v_mov_b32_e32 v10, 0
	s_waitcnt lgkmcnt(0)
	s_add_u32 s20, s0, 8
	v_mov_b32_e32 v11, 0
	v_mov_b32_e32 v2, v10
	s_addc_u32 s21, s1, 0
	s_mov_b64 s[22:23], 1
	v_mov_b32_e32 v3, v11
.LBB0_2:                                ; =>This Inner Loop Header: Depth=1
	s_load_dwordx2 s[24:25], s[20:21], 0x0
                                        ; implicit-def: $vgpr4_vgpr5
	s_waitcnt lgkmcnt(0)
	v_or_b32_e32 v7, s25, v9
	v_cmp_ne_u64_e32 vcc, 0, v[6:7]
	s_and_saveexec_b64 s[0:1], vcc
	s_xor_b64 s[26:27], exec, s[0:1]
	s_cbranch_execz .LBB0_4
; %bb.3:                                ;   in Loop: Header=BB0_2 Depth=1
	v_cvt_f32_u32_e32 v1, s24
	v_cvt_f32_u32_e32 v4, s25
	s_sub_u32 s0, 0, s24
	s_subb_u32 s1, 0, s25
	v_mac_f32_e32 v1, 0x4f800000, v4
	v_rcp_f32_e32 v1, v1
	v_mul_f32_e32 v1, 0x5f7ffffc, v1
	v_mul_f32_e32 v4, 0x2f800000, v1
	v_trunc_f32_e32 v4, v4
	v_mac_f32_e32 v1, 0xcf800000, v4
	v_cvt_u32_f32_e32 v4, v4
	v_cvt_u32_f32_e32 v1, v1
	v_mul_lo_u32 v5, s0, v4
	v_mul_hi_u32 v7, s0, v1
	v_mul_lo_u32 v13, s1, v1
	v_mul_lo_u32 v12, s0, v1
	v_add_u32_e32 v5, v7, v5
	v_add_u32_e32 v5, v5, v13
	v_mul_hi_u32 v7, v1, v12
	v_mul_lo_u32 v13, v1, v5
	v_mul_hi_u32 v15, v1, v5
	v_mul_hi_u32 v14, v4, v12
	v_mul_lo_u32 v12, v4, v12
	v_mul_hi_u32 v16, v4, v5
	v_add_co_u32_e32 v7, vcc, v7, v13
	v_addc_co_u32_e32 v13, vcc, 0, v15, vcc
	v_mul_lo_u32 v5, v4, v5
	v_add_co_u32_e32 v7, vcc, v7, v12
	v_addc_co_u32_e32 v7, vcc, v13, v14, vcc
	v_addc_co_u32_e32 v12, vcc, 0, v16, vcc
	v_add_co_u32_e32 v5, vcc, v7, v5
	v_addc_co_u32_e32 v7, vcc, 0, v12, vcc
	v_add_co_u32_e32 v1, vcc, v1, v5
	v_addc_co_u32_e32 v4, vcc, v4, v7, vcc
	v_mul_lo_u32 v5, s0, v4
	v_mul_hi_u32 v7, s0, v1
	v_mul_lo_u32 v12, s1, v1
	v_mul_lo_u32 v13, s0, v1
	v_add_u32_e32 v5, v7, v5
	v_add_u32_e32 v5, v5, v12
	v_mul_lo_u32 v14, v1, v5
	v_mul_hi_u32 v15, v1, v13
	v_mul_hi_u32 v16, v1, v5
	;; [unrolled: 1-line block ×3, first 2 shown]
	v_mul_lo_u32 v13, v4, v13
	v_mul_hi_u32 v7, v4, v5
	v_add_co_u32_e32 v14, vcc, v15, v14
	v_addc_co_u32_e32 v15, vcc, 0, v16, vcc
	v_mul_lo_u32 v5, v4, v5
	v_add_co_u32_e32 v13, vcc, v14, v13
	v_addc_co_u32_e32 v12, vcc, v15, v12, vcc
	v_addc_co_u32_e32 v7, vcc, 0, v7, vcc
	v_add_co_u32_e32 v5, vcc, v12, v5
	v_addc_co_u32_e32 v7, vcc, 0, v7, vcc
	v_add_co_u32_e32 v1, vcc, v1, v5
	v_addc_co_u32_e32 v7, vcc, v4, v7, vcc
	v_mad_u64_u32 v[4:5], s[0:1], v8, v7, 0
	v_mul_hi_u32 v12, v8, v1
	v_add_co_u32_e32 v14, vcc, v12, v4
	v_addc_co_u32_e32 v15, vcc, 0, v5, vcc
	v_mad_u64_u32 v[4:5], s[0:1], v9, v1, 0
	v_mad_u64_u32 v[12:13], s[0:1], v9, v7, 0
	v_add_co_u32_e32 v1, vcc, v14, v4
	v_addc_co_u32_e32 v1, vcc, v15, v5, vcc
	v_addc_co_u32_e32 v4, vcc, 0, v13, vcc
	v_add_co_u32_e32 v1, vcc, v1, v12
	v_addc_co_u32_e32 v7, vcc, 0, v4, vcc
	v_mul_lo_u32 v12, s25, v1
	v_mul_lo_u32 v13, s24, v7
	v_mad_u64_u32 v[4:5], s[0:1], s24, v1, 0
	v_add3_u32 v5, v5, v13, v12
	v_sub_u32_e32 v12, v9, v5
	v_mov_b32_e32 v13, s25
	v_sub_co_u32_e32 v4, vcc, v8, v4
	v_subb_co_u32_e64 v12, s[0:1], v12, v13, vcc
	v_subrev_co_u32_e64 v13, s[0:1], s24, v4
	v_subbrev_co_u32_e64 v12, s[0:1], 0, v12, s[0:1]
	v_cmp_le_u32_e64 s[0:1], s25, v12
	v_cndmask_b32_e64 v14, 0, -1, s[0:1]
	v_cmp_le_u32_e64 s[0:1], s24, v13
	v_cndmask_b32_e64 v13, 0, -1, s[0:1]
	v_cmp_eq_u32_e64 s[0:1], s25, v12
	v_cndmask_b32_e64 v12, v14, v13, s[0:1]
	v_add_co_u32_e64 v13, s[0:1], 2, v1
	v_addc_co_u32_e64 v14, s[0:1], 0, v7, s[0:1]
	v_add_co_u32_e64 v15, s[0:1], 1, v1
	v_addc_co_u32_e64 v16, s[0:1], 0, v7, s[0:1]
	v_subb_co_u32_e32 v5, vcc, v9, v5, vcc
	v_cmp_ne_u32_e64 s[0:1], 0, v12
	v_cmp_le_u32_e32 vcc, s25, v5
	v_cndmask_b32_e64 v12, v16, v14, s[0:1]
	v_cndmask_b32_e64 v14, 0, -1, vcc
	v_cmp_le_u32_e32 vcc, s24, v4
	v_cndmask_b32_e64 v4, 0, -1, vcc
	v_cmp_eq_u32_e32 vcc, s25, v5
	v_cndmask_b32_e32 v4, v14, v4, vcc
	v_cmp_ne_u32_e32 vcc, 0, v4
	v_cndmask_b32_e64 v4, v15, v13, s[0:1]
	v_cndmask_b32_e32 v5, v7, v12, vcc
	v_cndmask_b32_e32 v4, v1, v4, vcc
.LBB0_4:                                ;   in Loop: Header=BB0_2 Depth=1
	s_andn2_saveexec_b64 s[0:1], s[26:27]
	s_cbranch_execz .LBB0_6
; %bb.5:                                ;   in Loop: Header=BB0_2 Depth=1
	v_cvt_f32_u32_e32 v1, s24
	s_sub_i32 s26, 0, s24
	v_rcp_iflag_f32_e32 v1, v1
	v_mul_f32_e32 v1, 0x4f7ffffe, v1
	v_cvt_u32_f32_e32 v1, v1
	v_mul_lo_u32 v4, s26, v1
	v_mul_hi_u32 v4, v1, v4
	v_add_u32_e32 v1, v1, v4
	v_mul_hi_u32 v1, v8, v1
	v_mul_lo_u32 v4, v1, s24
	v_add_u32_e32 v5, 1, v1
	v_sub_u32_e32 v4, v8, v4
	v_subrev_u32_e32 v7, s24, v4
	v_cmp_le_u32_e32 vcc, s24, v4
	v_cndmask_b32_e32 v4, v4, v7, vcc
	v_cndmask_b32_e32 v1, v1, v5, vcc
	v_add_u32_e32 v5, 1, v1
	v_cmp_le_u32_e32 vcc, s24, v4
	v_cndmask_b32_e32 v4, v1, v5, vcc
	v_mov_b32_e32 v5, v6
.LBB0_6:                                ;   in Loop: Header=BB0_2 Depth=1
	s_or_b64 exec, exec, s[0:1]
	v_mul_lo_u32 v1, v5, s24
	v_mul_lo_u32 v7, v4, s25
	v_mad_u64_u32 v[12:13], s[0:1], v4, s24, 0
	s_load_dwordx2 s[0:1], s[6:7], 0x0
	s_load_dwordx2 s[24:25], s[2:3], 0x0
	v_add3_u32 v1, v13, v7, v1
	v_sub_co_u32_e32 v7, vcc, v8, v12
	v_subb_co_u32_e32 v1, vcc, v9, v1, vcc
	s_waitcnt lgkmcnt(0)
	v_mul_lo_u32 v8, s0, v1
	v_mul_lo_u32 v9, s1, v7
	v_mad_u64_u32 v[10:11], s[0:1], s0, v7, v[10:11]
	s_add_u32 s22, s22, 1
	s_addc_u32 s23, s23, 0
	s_add_u32 s2, s2, 8
	v_mul_lo_u32 v1, s24, v1
	v_mul_lo_u32 v12, s25, v7
	v_mad_u64_u32 v[2:3], s[0:1], s24, v7, v[2:3]
	v_add3_u32 v11, v9, v11, v8
	s_addc_u32 s3, s3, 0
	v_mov_b32_e32 v7, s14
	s_add_u32 s6, s6, 8
	v_mov_b32_e32 v8, s15
	s_addc_u32 s7, s7, 0
	v_cmp_ge_u64_e32 vcc, s[22:23], v[7:8]
	s_add_u32 s20, s20, 8
	v_add3_u32 v3, v12, v3, v1
	s_addc_u32 s21, s21, 0
	s_cbranch_vccnz .LBB0_9
; %bb.7:                                ;   in Loop: Header=BB0_2 Depth=1
	v_mov_b32_e32 v9, v5
	v_mov_b32_e32 v8, v4
	s_branch .LBB0_2
.LBB0_8:
	v_mov_b32_e32 v2, v10
	v_mov_b32_e32 v4, v8
	;; [unrolled: 1-line block ×4, first 2 shown]
.LBB0_9:
	s_load_dwordx2 s[0:1], s[4:5], 0x28
	s_lshl_b64 s[6:7], s[14:15], 3
	s_add_u32 s2, s18, s6
	s_addc_u32 s3, s19, s7
	v_or_b32_e32 v6, 64, v0
	s_waitcnt lgkmcnt(0)
	v_cmp_gt_u64_e32 vcc, s[0:1], v[4:5]
	v_cmp_le_u64_e64 s[0:1], s[0:1], v[4:5]
                                        ; implicit-def: $vgpr9
                                        ; implicit-def: $vgpr8
                                        ; implicit-def: $vgpr14
                                        ; implicit-def: $vgpr13
                                        ; implicit-def: $vgpr7
                                        ; implicit-def: $vgpr1
	s_and_saveexec_b64 s[4:5], s[0:1]
	s_xor_b64 s[0:1], exec, s[4:5]
; %bb.10:
	v_or_b32_e32 v6, 64, v0
	v_or_b32_e32 v9, 0x80, v0
	;; [unrolled: 1-line block ×7, first 2 shown]
                                        ; implicit-def: $vgpr10_vgpr11
; %bb.11:
	s_andn2_saveexec_b64 s[4:5], s[0:1]
	s_cbranch_execz .LBB0_13
; %bb.12:
	s_add_u32 s0, s16, s6
	s_addc_u32 s1, s17, s7
	s_load_dwordx2 s[0:1], s[0:1], 0x0
	v_mov_b32_e32 v13, s9
	v_lshlrev_b64 v[9:10], 3, v[10:11]
	v_or_b32_e32 v14, 0x100, v0
	s_waitcnt lgkmcnt(0)
	v_mul_lo_u32 v1, s1, v4
	v_mul_lo_u32 v12, s0, v5
	v_mad_u64_u32 v[7:8], s[0:1], s0, v4, 0
	v_add3_u32 v8, v8, v12, v1
	v_lshlrev_b64 v[7:8], 3, v[7:8]
	v_lshlrev_b32_e32 v12, 3, v0
	v_add_co_u32_e64 v1, s[0:1], s8, v7
	v_addc_co_u32_e64 v7, s[0:1], v13, v8, s[0:1]
	v_add_co_u32_e64 v1, s[0:1], v1, v9
	v_addc_co_u32_e64 v8, s[0:1], v7, v10, s[0:1]
	;; [unrolled: 2-line block ×3, first 2 shown]
	global_load_dwordx2 v[10:11], v[7:8], off
	global_load_dwordx2 v[15:16], v[7:8], off offset:512
	global_load_dwordx2 v[17:18], v[7:8], off offset:1024
	;; [unrolled: 1-line block ×7, first 2 shown]
	v_or_b32_e32 v9, 0x80, v0
	v_or_b32_e32 v8, 0xc0, v0
	;; [unrolled: 1-line block ×5, first 2 shown]
	v_add_u32_e32 v12, 0, v12
	s_waitcnt vmcnt(6)
	ds_write2st64_b64 v12, v[10:11], v[15:16] offset1:1
	s_waitcnt vmcnt(4)
	ds_write2st64_b64 v12, v[17:18], v[19:20] offset0:2 offset1:3
	s_waitcnt vmcnt(2)
	ds_write2st64_b64 v12, v[21:22], v[23:24] offset0:4 offset1:5
	;; [unrolled: 2-line block ×3, first 2 shown]
.LBB0_13:
	s_or_b64 exec, exec, s[4:5]
	v_lshlrev_b32_e32 v15, 3, v0
	v_add_u32_e32 v12, 0, v15
	s_load_dwordx2 s[2:3], s[2:3], 0x0
	s_waitcnt lgkmcnt(0)
	; wave barrier
	s_waitcnt lgkmcnt(0)
	ds_read2st64_b64 v[16:19], v12 offset0:4 offset1:5
	ds_read2st64_b64 v[20:23], v12 offset1:1
	ds_read2st64_b64 v[24:27], v12 offset0:2 offset1:3
	ds_read2st64_b64 v[28:31], v12 offset0:6 offset1:7
	s_waitcnt lgkmcnt(0)
	; wave barrier
	s_waitcnt lgkmcnt(0)
	v_sub_f32_e32 v32, v20, v16
	v_sub_f32_e32 v33, v21, v17
	v_sub_f32_e32 v18, v22, v18
	v_sub_f32_e32 v19, v23, v19
	v_fma_f32 v10, v20, 2.0, -v32
	v_fma_f32 v11, v21, 2.0, -v33
	v_fma_f32 v16, v22, 2.0, -v18
	v_fma_f32 v17, v23, 2.0, -v19
	v_sub_f32_e32 v20, v24, v28
	v_sub_f32_e32 v21, v25, v29
	v_sub_f32_e32 v22, v26, v30
	v_sub_f32_e32 v23, v27, v31
	v_fma_f32 v24, v24, 2.0, -v20
	v_fma_f32 v25, v25, 2.0, -v21
	v_fma_f32 v26, v26, 2.0, -v22
	v_fma_f32 v27, v27, 2.0, -v23
	;; [unrolled: 8-line block ×3, first 2 shown]
	v_sub_f32_e32 v10, v28, v10
	v_sub_f32_e32 v11, v29, v11
	v_fma_f32 v16, v28, 2.0, -v10
	v_fma_f32 v17, v29, 2.0, -v11
	v_sub_f32_e32 v28, v32, v21
	v_add_f32_e32 v29, v33, v20
	v_fma_f32 v20, v32, 2.0, -v28
	v_fma_f32 v21, v33, 2.0, -v29
	v_sub_f32_e32 v30, v18, v23
	v_add_f32_e32 v31, v19, v22
	v_fma_f32 v22, v18, 2.0, -v30
	v_fma_f32 v23, v19, 2.0, -v31
	v_mov_b32_e32 v18, v20
	v_mov_b32_e32 v19, v21
	v_fmac_f32_e32 v18, 0xbf3504f3, v22
	v_fmac_f32_e32 v19, 0xbf3504f3, v23
	;; [unrolled: 1-line block ×4, first 2 shown]
	v_mov_b32_e32 v22, v28
	v_mov_b32_e32 v23, v29
	v_fma_f32 v20, v20, 2.0, -v18
	v_fma_f32 v21, v21, 2.0, -v19
	v_mad_u32_u24 v32, v0, 56, v12
	v_fmac_f32_e32 v22, 0x3f3504f3, v30
	v_fmac_f32_e32 v23, 0x3f3504f3, v31
	ds_write2_b64 v32, v[16:17], v[20:21] offset1:1
	v_sub_f32_e32 v16, v24, v27
	v_add_f32_e32 v17, v25, v26
	v_fmac_f32_e32 v22, 0xbf3504f3, v31
	v_fmac_f32_e32 v23, 0x3f3504f3, v30
	v_fma_f32 v20, v24, 2.0, -v16
	v_fma_f32 v21, v25, 2.0, -v17
	v_fma_f32 v24, v28, 2.0, -v22
	v_fma_f32 v25, v29, 2.0, -v23
	ds_write2_b64 v32, v[20:21], v[24:25] offset0:2 offset1:3
	ds_write2_b64 v32, v[10:11], v[18:19] offset0:4 offset1:5
	ds_write2_b64 v32, v[16:17], v[22:23] offset0:6 offset1:7
	v_and_b32_e32 v10, 7, v0
	v_mul_u32_u24_e32 v10, 7, v10
	v_lshlrev_b32_e32 v28, 3, v10
	s_waitcnt lgkmcnt(0)
	; wave barrier
	s_waitcnt lgkmcnt(0)
	global_load_dwordx2 v[10:11], v28, s[12:13] offset:48
	global_load_dwordx4 v[16:19], v28, s[12:13] offset:32
	ds_read2st64_b64 v[20:23], v12 offset0:6 offset1:7
	ds_read2st64_b64 v[24:27], v12 offset0:4 offset1:5
	v_lshl_add_u32 v14, v14, 3, 0
	v_lshl_add_u32 v7, v7, 3, 0
	;; [unrolled: 1-line block ×3, first 2 shown]
	v_cmp_ne_u32_e64 s[0:1], 0, v0
	s_waitcnt vmcnt(1) lgkmcnt(1)
	v_mul_f32_e32 v29, v23, v11
	v_mul_f32_e32 v11, v22, v11
	s_waitcnt vmcnt(0)
	v_mul_f32_e32 v30, v19, v21
	v_fma_f32 v32, v22, v10, -v29
	v_fmac_f32_e32 v11, v23, v10
	v_mul_f32_e32 v10, v19, v20
	s_waitcnt lgkmcnt(0)
	v_mul_f32_e32 v19, v17, v27
	v_mul_f32_e32 v34, v17, v26
	v_fma_f32 v33, v18, v20, -v30
	v_fmac_f32_e32 v10, v18, v21
	v_fma_f32 v35, v16, v26, -v19
	v_fmac_f32_e32 v34, v16, v27
	global_load_dwordx4 v[16:19], v28, s[12:13] offset:16
	global_load_dwordx4 v[20:23], v28, s[12:13]
	s_waitcnt vmcnt(1)
	v_mul_f32_e32 v26, v19, v25
	v_mul_f32_e32 v19, v19, v24
	v_fma_f32 v36, v18, v24, -v26
	v_fmac_f32_e32 v19, v18, v25
	ds_read2st64_b64 v[24:27], v12 offset0:2 offset1:3
	ds_read2st64_b64 v[28:31], v12 offset1:1
	s_waitcnt lgkmcnt(0)
	; wave barrier
	s_waitcnt lgkmcnt(0)
	v_mul_f32_e32 v18, v17, v27
	v_mul_f32_e32 v17, v17, v26
	v_fma_f32 v18, v16, v26, -v18
	v_fmac_f32_e32 v17, v16, v27
	s_waitcnt vmcnt(0)
	v_mul_f32_e32 v16, v23, v25
	v_mul_f32_e32 v23, v23, v24
	v_fma_f32 v16, v22, v24, -v16
	v_fmac_f32_e32 v23, v22, v25
	v_mul_f32_e32 v22, v21, v31
	v_mul_f32_e32 v21, v21, v30
	v_fma_f32 v22, v20, v30, -v22
	v_fmac_f32_e32 v21, v20, v31
	v_sub_f32_e32 v20, v28, v36
	v_sub_f32_e32 v19, v29, v19
	;; [unrolled: 1-line block ×4, first 2 shown]
	v_fma_f32 v24, v28, 2.0, -v20
	v_fma_f32 v25, v29, 2.0, -v19
	;; [unrolled: 1-line block ×4, first 2 shown]
	v_sub_f32_e32 v28, v21, v34
	v_sub_f32_e32 v30, v17, v11
	;; [unrolled: 1-line block ×3, first 2 shown]
	v_fma_f32 v21, v21, 2.0, -v28
	v_sub_f32_e32 v29, v18, v32
	v_fma_f32 v17, v17, 2.0, -v30
	v_sub_f32_e32 v32, v25, v16
	v_fma_f32 v22, v22, 2.0, -v23
	v_fma_f32 v11, v18, 2.0, -v29
	v_sub_f32_e32 v31, v24, v10
	v_fma_f32 v18, v25, 2.0, -v32
	v_sub_f32_e32 v25, v21, v17
	v_add_f32_e32 v26, v19, v26
	v_fma_f32 v16, v24, 2.0, -v31
	v_sub_f32_e32 v24, v22, v11
	v_fma_f32 v11, v21, 2.0, -v25
	v_sub_f32_e32 v27, v20, v27
	;; [unrolled: 2-line block ×3, first 2 shown]
	v_add_f32_e32 v29, v28, v29
	v_fma_f32 v10, v22, 2.0, -v24
	v_sub_f32_e32 v11, v18, v11
	v_fma_f32 v20, v20, 2.0, -v27
	v_fma_f32 v22, v23, 2.0, -v30
	;; [unrolled: 1-line block ×3, first 2 shown]
	v_mov_b32_e32 v19, v21
	v_fma_f32 v17, v18, 2.0, -v11
	v_mov_b32_e32 v18, v20
	v_fmac_f32_e32 v19, 0xbf3504f3, v23
	v_fmac_f32_e32 v18, 0xbf3504f3, v22
	;; [unrolled: 1-line block ×3, first 2 shown]
	v_or_b32_e32 v22, v15, v0
	v_and_b32_e32 v22, 0x1c7, v22
	v_sub_f32_e32 v10, v16, v10
	v_fmac_f32_e32 v18, 0xbf3504f3, v23
	v_lshl_add_u32 v28, v22, 3, 0
	v_mov_b32_e32 v22, v27
	v_mov_b32_e32 v23, v26
	v_fma_f32 v16, v16, 2.0, -v10
	v_fma_f32 v20, v20, 2.0, -v18
	;; [unrolled: 1-line block ×3, first 2 shown]
	v_fmac_f32_e32 v22, 0x3f3504f3, v30
	v_fmac_f32_e32 v23, 0x3f3504f3, v29
	ds_write2_b64 v28, v[16:17], v[20:21] offset1:8
	v_sub_f32_e32 v16, v31, v25
	v_add_f32_e32 v17, v32, v24
	v_fmac_f32_e32 v22, 0xbf3504f3, v29
	v_fmac_f32_e32 v23, 0x3f3504f3, v30
	v_fma_f32 v20, v31, 2.0, -v16
	v_fma_f32 v21, v32, 2.0, -v17
	;; [unrolled: 1-line block ×4, first 2 shown]
	ds_write2_b64 v28, v[20:21], v[24:25] offset0:16 offset1:24
	ds_write2_b64 v28, v[10:11], v[18:19] offset0:32 offset1:40
	;; [unrolled: 1-line block ×3, first 2 shown]
	v_mul_u32_u24_e32 v10, 7, v0
	v_lshlrev_b32_e32 v28, 3, v10
	s_waitcnt lgkmcnt(0)
	; wave barrier
	s_waitcnt lgkmcnt(0)
	global_load_dwordx2 v[10:11], v28, s[12:13] offset:496
	global_load_dwordx4 v[16:19], v28, s[12:13] offset:480
	ds_read2st64_b64 v[20:23], v12 offset0:6 offset1:7
	ds_read2st64_b64 v[24:27], v12 offset0:4 offset1:5
	s_waitcnt vmcnt(1) lgkmcnt(1)
	v_mul_f32_e32 v29, v23, v11
	v_mul_f32_e32 v11, v22, v11
	v_fma_f32 v32, v22, v10, -v29
	v_fmac_f32_e32 v11, v23, v10
	s_waitcnt vmcnt(0)
	v_mul_f32_e32 v10, v19, v21
	v_mul_f32_e32 v33, v19, v20
	v_fma_f32 v10, v18, v20, -v10
	v_fmac_f32_e32 v33, v18, v21
	s_waitcnt lgkmcnt(0)
	v_mul_f32_e32 v18, v17, v27
	v_mul_f32_e32 v35, v17, v26
	v_fma_f32 v34, v16, v26, -v18
	v_fmac_f32_e32 v35, v16, v27
	global_load_dwordx4 v[16:19], v28, s[12:13] offset:464
	global_load_dwordx4 v[20:23], v28, s[12:13] offset:448
	s_waitcnt vmcnt(1)
	v_mul_f32_e32 v26, v19, v25
	v_mul_f32_e32 v19, v19, v24
	v_fma_f32 v36, v18, v24, -v26
	v_fmac_f32_e32 v19, v18, v25
	ds_read2st64_b64 v[24:27], v12 offset0:2 offset1:3
	ds_read2st64_b64 v[28:31], v12 offset1:1
	s_waitcnt lgkmcnt(0)
	; wave barrier
	s_waitcnt lgkmcnt(0)
	v_mul_f32_e32 v18, v17, v27
	v_mul_f32_e32 v17, v17, v26
	v_fma_f32 v18, v16, v26, -v18
	v_fmac_f32_e32 v17, v16, v27
	s_waitcnt vmcnt(0)
	v_mul_f32_e32 v16, v23, v25
	v_mul_f32_e32 v23, v23, v24
	v_fma_f32 v16, v22, v24, -v16
	v_fmac_f32_e32 v23, v22, v25
	v_mul_f32_e32 v22, v21, v31
	v_mul_f32_e32 v21, v21, v30
	v_fma_f32 v22, v20, v30, -v22
	v_fmac_f32_e32 v21, v20, v31
	v_sub_f32_e32 v20, v28, v36
	v_sub_f32_e32 v19, v29, v19
	;; [unrolled: 1-line block ×4, first 2 shown]
	v_fma_f32 v24, v28, 2.0, -v20
	v_fma_f32 v25, v29, 2.0, -v19
	;; [unrolled: 1-line block ×4, first 2 shown]
	v_sub_f32_e32 v23, v22, v34
	v_sub_f32_e32 v28, v21, v35
	;; [unrolled: 1-line block ×4, first 2 shown]
	v_fma_f32 v22, v22, 2.0, -v23
	v_fma_f32 v21, v21, 2.0, -v28
	;; [unrolled: 1-line block ×4, first 2 shown]
	v_sub_f32_e32 v31, v24, v10
	v_sub_f32_e32 v32, v25, v16
	v_fma_f32 v16, v24, 2.0, -v31
	v_fma_f32 v18, v25, 2.0, -v32
	v_sub_f32_e32 v24, v22, v11
	v_sub_f32_e32 v25, v21, v17
	v_fma_f32 v10, v22, 2.0, -v24
	v_fma_f32 v11, v21, 2.0, -v25
	;; [unrolled: 4-line block ×3, first 2 shown]
	v_sub_f32_e32 v27, v20, v27
	v_add_f32_e32 v26, v19, v26
	ds_write_b64 v12, v[16:17]
	v_fma_f32 v16, v20, 2.0, -v27
	v_fma_f32 v17, v19, 2.0, -v26
	v_sub_f32_e32 v30, v23, v30
	v_add_f32_e32 v29, v28, v29
	v_fma_f32 v18, v23, 2.0, -v30
	v_fma_f32 v21, v28, 2.0, -v29
	v_mov_b32_e32 v19, v16
	v_mov_b32_e32 v20, v17
	v_fmac_f32_e32 v19, 0xbf3504f3, v18
	v_fmac_f32_e32 v20, 0xbf3504f3, v21
	;; [unrolled: 1-line block ×4, first 2 shown]
	v_fma_f32 v16, v16, 2.0, -v19
	v_fma_f32 v17, v17, 2.0, -v20
	v_lshl_add_u32 v18, v6, 3, 0
	v_sub_f32_e32 v21, v31, v25
	v_add_f32_e32 v22, v32, v24
	ds_write_b64 v18, v[16:17]
	v_fma_f32 v23, v31, 2.0, -v21
	v_fma_f32 v24, v32, 2.0, -v22
	v_lshl_add_u32 v17, v9, 3, 0
	ds_write_b64 v17, v[23:24]
	v_mov_b32_e32 v23, v27
	v_mov_b32_e32 v24, v26
	v_fmac_f32_e32 v23, 0x3f3504f3, v30
	v_fmac_f32_e32 v24, 0x3f3504f3, v29
	;; [unrolled: 1-line block ×4, first 2 shown]
	v_fma_f32 v25, v27, 2.0, -v23
	v_fma_f32 v26, v26, 2.0, -v24
	v_lshl_add_u32 v16, v8, 3, 0
	ds_write_b64 v16, v[25:26]
	ds_write_b64 v14, v[10:11]
	v_lshl_add_u32 v10, v13, 3, 0
	ds_write_b64 v10, v[19:20]
	ds_write_b64 v7, v[21:22]
	ds_write_b64 v1, v[23:24]
	s_waitcnt lgkmcnt(0)
	; wave barrier
	s_waitcnt lgkmcnt(0)
	ds_read_b64 v[10:11], v12
	v_sub_u32_e32 v13, 0, v15
                                        ; implicit-def: $vgpr14
                                        ; implicit-def: $vgpr1
	s_and_saveexec_b64 s[4:5], s[0:1]
	s_xor_b64 s[4:5], exec, s[4:5]
	s_cbranch_execz .LBB0_15
; %bb.14:
	v_mov_b32_e32 v1, 0
	v_lshlrev_b64 v[14:15], 3, v[0:1]
	v_mov_b32_e32 v1, s13
	v_add_co_u32_e64 v14, s[0:1], s12, v14
	v_addc_co_u32_e64 v15, s[0:1], v1, v15, s[0:1]
	global_load_dwordx2 v[14:15], v[14:15], off offset:4032
	ds_read_b64 v[19:20], v13 offset:4096
	s_waitcnt lgkmcnt(0)
	v_add_f32_e32 v7, v19, v10
	v_add_f32_e32 v1, v20, v11
	v_sub_f32_e32 v10, v10, v19
	v_sub_f32_e32 v11, v11, v20
	v_mul_f32_e32 v19, 0.5, v1
	v_mul_f32_e32 v10, 0.5, v10
	;; [unrolled: 1-line block ×3, first 2 shown]
	s_waitcnt vmcnt(0)
	v_mul_f32_e32 v11, v15, v10
	v_fma_f32 v20, v19, v15, v1
	v_fma_f32 v15, v19, v15, -v1
	v_fma_f32 v1, 0.5, v7, v11
	v_fma_f32 v20, -v14, v10, v20
	v_fma_f32 v7, v7, 0.5, -v11
	v_fma_f32 v10, -v14, v10, v15
	v_fmac_f32_e32 v1, v14, v19
	ds_write_b32 v12, v20 offset:4
	v_fma_f32 v14, -v14, v19, v7
	ds_write_b32 v13, v10 offset:4100
                                        ; implicit-def: $vgpr10_vgpr11
.LBB0_15:
	s_andn2_saveexec_b64 s[0:1], s[4:5]
	s_cbranch_execz .LBB0_17
; %bb.16:
	v_mov_b32_e32 v7, 0
	ds_write_b32 v12, v7 offset:4
	ds_write_b32 v13, v7 offset:4100
	ds_read_b32 v15, v7 offset:2052
	s_waitcnt lgkmcnt(3)
	v_add_f32_e32 v1, v10, v11
	v_sub_f32_e32 v14, v10, v11
	s_waitcnt lgkmcnt(0)
	v_xor_b32_e32 v10, 0x80000000, v15
	ds_write_b32 v7, v10 offset:2052
.LBB0_17:
	s_or_b64 exec, exec, s[0:1]
	v_mov_b32_e32 v7, 0
	s_waitcnt lgkmcnt(0)
	v_lshlrev_b64 v[10:11], 3, v[6:7]
	v_mov_b32_e32 v6, s13
	v_add_co_u32_e64 v10, s[0:1], s12, v10
	v_addc_co_u32_e64 v11, s[0:1], v6, v11, s[0:1]
	global_load_dwordx2 v[19:20], v[10:11], off offset:4032
	v_mov_b32_e32 v10, v7
	v_lshlrev_b64 v[9:10], 3, v[9:10]
	v_add_co_u32_e64 v9, s[0:1], s12, v9
	v_addc_co_u32_e64 v10, s[0:1], v6, v10, s[0:1]
	global_load_dwordx2 v[10:11], v[9:10], off offset:4032
	v_mov_b32_e32 v9, v7
	v_lshlrev_b64 v[8:9], 3, v[8:9]
	v_add_co_u32_e64 v8, s[0:1], s12, v8
	v_addc_co_u32_e64 v9, s[0:1], v6, v9, s[0:1]
	global_load_dwordx2 v[8:9], v[8:9], off offset:4032
	ds_write_b32 v12, v1
	ds_write_b32 v13, v14 offset:4096
	ds_read_b64 v[14:15], v18
	ds_read_b64 v[21:22], v13 offset:3584
	s_waitcnt lgkmcnt(0)
	v_sub_f32_e32 v12, v14, v21
	v_add_f32_e32 v1, v14, v21
	v_add_f32_e32 v6, v15, v22
	v_sub_f32_e32 v14, v15, v22
	v_mul_f32_e32 v12, 0.5, v12
	v_mul_f32_e32 v6, 0.5, v6
	;; [unrolled: 1-line block ×3, first 2 shown]
	s_waitcnt vmcnt(2)
	v_mul_f32_e32 v15, v20, v12
	v_fma_f32 v21, v6, v20, v14
	v_fma_f32 v14, v6, v20, -v14
	v_fma_f32 v20, 0.5, v1, v15
	v_fma_f32 v21, -v19, v12, v21
	v_fma_f32 v1, v1, 0.5, -v15
	v_fmac_f32_e32 v20, v19, v6
	v_fma_f32 v15, -v19, v12, v14
	v_fma_f32 v14, -v19, v6, v1
	ds_write2_b32 v18, v20, v21 offset1:1
	ds_write_b64 v13, v[14:15] offset:3584
	ds_read_b64 v[14:15], v17
	ds_read_b64 v[18:19], v13 offset:3072
	s_waitcnt lgkmcnt(0)
	v_sub_f32_e32 v12, v14, v18
	v_add_f32_e32 v1, v14, v18
	v_add_f32_e32 v6, v15, v19
	v_sub_f32_e32 v14, v15, v19
	v_mul_f32_e32 v12, 0.5, v12
	v_mul_f32_e32 v6, 0.5, v6
	;; [unrolled: 1-line block ×3, first 2 shown]
	s_waitcnt vmcnt(1)
	v_mul_f32_e32 v15, v11, v12
	v_fma_f32 v18, v6, v11, v14
	v_fma_f32 v11, v6, v11, -v14
	v_fma_f32 v14, 0.5, v1, v15
	v_fma_f32 v18, -v10, v12, v18
	v_fma_f32 v1, v1, 0.5, -v15
	v_fmac_f32_e32 v14, v10, v6
	v_fma_f32 v11, -v10, v12, v11
	v_fma_f32 v10, -v10, v6, v1
	ds_write2_b32 v17, v14, v18 offset1:1
	ds_write_b64 v13, v[10:11] offset:3072
	ds_read_b64 v[10:11], v16
	ds_read_b64 v[14:15], v13 offset:2560
	s_waitcnt lgkmcnt(0)
	v_add_f32_e32 v1, v10, v14
	v_sub_f32_e32 v10, v10, v14
	v_add_f32_e32 v6, v11, v15
	v_sub_f32_e32 v11, v11, v15
	v_mul_f32_e32 v10, 0.5, v10
	v_mul_f32_e32 v6, 0.5, v6
	;; [unrolled: 1-line block ×3, first 2 shown]
	s_waitcnt vmcnt(0)
	v_mul_f32_e32 v12, v9, v10
	v_fma_f32 v14, v6, v9, v11
	v_fma_f32 v9, v6, v9, -v11
	v_fma_f32 v11, 0.5, v1, v12
	v_fma_f32 v14, -v8, v10, v14
	v_fma_f32 v1, v1, 0.5, -v12
	v_fmac_f32_e32 v11, v8, v6
	v_fma_f32 v9, -v8, v10, v9
	v_fma_f32 v8, -v8, v6, v1
	ds_write2_b32 v16, v11, v14 offset1:1
	ds_write_b64 v13, v[8:9] offset:2560
	s_waitcnt lgkmcnt(0)
	; wave barrier
	s_waitcnt lgkmcnt(0)
	s_and_saveexec_b64 s[0:1], vcc
	s_cbranch_execz .LBB0_20
; %bb.18:
	v_mul_lo_u32 v1, s3, v4
	v_mul_lo_u32 v6, s2, v5
	v_mad_u64_u32 v[4:5], s[0:1], s2, v4, 0
	v_lshl_add_u32 v16, v0, 3, 0
	ds_read2st64_b64 v[8:11], v16 offset1:1
	v_add3_u32 v5, v5, v6, v1
	v_lshlrev_b64 v[4:5], 3, v[4:5]
	v_mov_b32_e32 v6, s11
	v_add_co_u32_e32 v12, vcc, s10, v4
	v_lshlrev_b64 v[3:4], 3, v[2:3]
	v_addc_co_u32_e32 v5, vcc, v6, v5, vcc
	v_mov_b32_e32 v1, v7
	v_add_co_u32_e32 v3, vcc, v12, v3
	ds_read2st64_b64 v[12:15], v16 offset0:2 offset1:3
	v_addc_co_u32_e32 v2, vcc, v5, v4, vcc
	v_lshlrev_b64 v[4:5], 3, v[0:1]
	v_add_u32_e32 v6, 64, v0
	v_add_co_u32_e32 v4, vcc, v3, v4
	v_addc_co_u32_e32 v5, vcc, v2, v5, vcc
	s_waitcnt lgkmcnt(1)
	global_store_dwordx2 v[4:5], v[8:9], off
	v_lshlrev_b64 v[4:5], 3, v[6:7]
	v_add_u32_e32 v6, 0x80, v0
	v_add_co_u32_e32 v4, vcc, v3, v4
	v_addc_co_u32_e32 v5, vcc, v2, v5, vcc
	global_store_dwordx2 v[4:5], v[10:11], off
	v_lshlrev_b64 v[4:5], 3, v[6:7]
	v_add_u32_e32 v6, 0xc0, v0
	v_add_co_u32_e32 v4, vcc, v3, v4
	v_addc_co_u32_e32 v5, vcc, v2, v5, vcc
	s_waitcnt lgkmcnt(0)
	global_store_dwordx2 v[4:5], v[12:13], off
	v_lshlrev_b64 v[4:5], 3, v[6:7]
	v_add_u32_e32 v6, 0x100, v0
	v_add_co_u32_e32 v4, vcc, v3, v4
	v_addc_co_u32_e32 v5, vcc, v2, v5, vcc
	ds_read2st64_b64 v[8:11], v16 offset0:4 offset1:5
	global_store_dwordx2 v[4:5], v[14:15], off
	ds_read2st64_b64 v[12:15], v16 offset0:6 offset1:7
	v_lshlrev_b64 v[4:5], 3, v[6:7]
	v_add_u32_e32 v6, 0x140, v0
	v_add_co_u32_e32 v4, vcc, v3, v4
	v_addc_co_u32_e32 v5, vcc, v2, v5, vcc
	s_waitcnt lgkmcnt(1)
	global_store_dwordx2 v[4:5], v[8:9], off
	v_lshlrev_b64 v[4:5], 3, v[6:7]
	v_add_u32_e32 v6, 0x180, v0
	v_add_co_u32_e32 v4, vcc, v3, v4
	v_addc_co_u32_e32 v5, vcc, v2, v5, vcc
	global_store_dwordx2 v[4:5], v[10:11], off
	v_lshlrev_b64 v[4:5], 3, v[6:7]
	v_add_u32_e32 v6, 0x1c0, v0
	v_add_co_u32_e32 v4, vcc, v3, v4
	v_addc_co_u32_e32 v5, vcc, v2, v5, vcc
	s_waitcnt lgkmcnt(0)
	global_store_dwordx2 v[4:5], v[12:13], off
	v_lshlrev_b64 v[4:5], 3, v[6:7]
	v_add_co_u32_e32 v4, vcc, v3, v4
	v_addc_co_u32_e32 v5, vcc, v2, v5, vcc
	v_cmp_eq_u32_e32 vcc, 63, v0
	global_store_dwordx2 v[4:5], v[14:15], off
	s_and_b64 exec, exec, vcc
	s_cbranch_execz .LBB0_20
; %bb.19:
	v_mov_b32_e32 v0, 0
	ds_read_b64 v[0:1], v0 offset:4096
	v_add_co_u32_e32 v3, vcc, 0x1000, v3
	v_addc_co_u32_e32 v4, vcc, 0, v2, vcc
	s_waitcnt lgkmcnt(0)
	global_store_dwordx2 v[3:4], v[0:1], off
.LBB0_20:
	s_endpgm
	.section	.rodata,"a",@progbits
	.p2align	6, 0x0
	.amdhsa_kernel fft_rtc_fwd_len512_factors_8_8_8_wgs_64_tpt_64_halfLds_sp_op_CI_CI_unitstride_sbrr_R2C_dirReg
		.amdhsa_group_segment_fixed_size 0
		.amdhsa_private_segment_fixed_size 0
		.amdhsa_kernarg_size 104
		.amdhsa_user_sgpr_count 6
		.amdhsa_user_sgpr_private_segment_buffer 1
		.amdhsa_user_sgpr_dispatch_ptr 0
		.amdhsa_user_sgpr_queue_ptr 0
		.amdhsa_user_sgpr_kernarg_segment_ptr 1
		.amdhsa_user_sgpr_dispatch_id 0
		.amdhsa_user_sgpr_flat_scratch_init 0
		.amdhsa_user_sgpr_private_segment_size 0
		.amdhsa_uses_dynamic_stack 0
		.amdhsa_system_sgpr_private_segment_wavefront_offset 0
		.amdhsa_system_sgpr_workgroup_id_x 1
		.amdhsa_system_sgpr_workgroup_id_y 0
		.amdhsa_system_sgpr_workgroup_id_z 0
		.amdhsa_system_sgpr_workgroup_info 0
		.amdhsa_system_vgpr_workitem_id 0
		.amdhsa_next_free_vgpr 37
		.amdhsa_next_free_sgpr 28
		.amdhsa_reserve_vcc 1
		.amdhsa_reserve_flat_scratch 0
		.amdhsa_float_round_mode_32 0
		.amdhsa_float_round_mode_16_64 0
		.amdhsa_float_denorm_mode_32 3
		.amdhsa_float_denorm_mode_16_64 3
		.amdhsa_dx10_clamp 1
		.amdhsa_ieee_mode 1
		.amdhsa_fp16_overflow 0
		.amdhsa_exception_fp_ieee_invalid_op 0
		.amdhsa_exception_fp_denorm_src 0
		.amdhsa_exception_fp_ieee_div_zero 0
		.amdhsa_exception_fp_ieee_overflow 0
		.amdhsa_exception_fp_ieee_underflow 0
		.amdhsa_exception_fp_ieee_inexact 0
		.amdhsa_exception_int_div_zero 0
	.end_amdhsa_kernel
	.text
.Lfunc_end0:
	.size	fft_rtc_fwd_len512_factors_8_8_8_wgs_64_tpt_64_halfLds_sp_op_CI_CI_unitstride_sbrr_R2C_dirReg, .Lfunc_end0-fft_rtc_fwd_len512_factors_8_8_8_wgs_64_tpt_64_halfLds_sp_op_CI_CI_unitstride_sbrr_R2C_dirReg
                                        ; -- End function
	.section	.AMDGPU.csdata,"",@progbits
; Kernel info:
; codeLenInByte = 4548
; NumSgprs: 32
; NumVgprs: 37
; ScratchSize: 0
; MemoryBound: 0
; FloatMode: 240
; IeeeMode: 1
; LDSByteSize: 0 bytes/workgroup (compile time only)
; SGPRBlocks: 3
; VGPRBlocks: 9
; NumSGPRsForWavesPerEU: 32
; NumVGPRsForWavesPerEU: 37
; Occupancy: 6
; WaveLimiterHint : 1
; COMPUTE_PGM_RSRC2:SCRATCH_EN: 0
; COMPUTE_PGM_RSRC2:USER_SGPR: 6
; COMPUTE_PGM_RSRC2:TRAP_HANDLER: 0
; COMPUTE_PGM_RSRC2:TGID_X_EN: 1
; COMPUTE_PGM_RSRC2:TGID_Y_EN: 0
; COMPUTE_PGM_RSRC2:TGID_Z_EN: 0
; COMPUTE_PGM_RSRC2:TIDIG_COMP_CNT: 0
	.type	__hip_cuid_7250d2bbbefce986,@object ; @__hip_cuid_7250d2bbbefce986
	.section	.bss,"aw",@nobits
	.globl	__hip_cuid_7250d2bbbefce986
__hip_cuid_7250d2bbbefce986:
	.byte	0                               ; 0x0
	.size	__hip_cuid_7250d2bbbefce986, 1

	.ident	"AMD clang version 19.0.0git (https://github.com/RadeonOpenCompute/llvm-project roc-6.4.0 25133 c7fe45cf4b819c5991fe208aaa96edf142730f1d)"
	.section	".note.GNU-stack","",@progbits
	.addrsig
	.addrsig_sym __hip_cuid_7250d2bbbefce986
	.amdgpu_metadata
---
amdhsa.kernels:
  - .args:
      - .actual_access:  read_only
        .address_space:  global
        .offset:         0
        .size:           8
        .value_kind:     global_buffer
      - .offset:         8
        .size:           8
        .value_kind:     by_value
      - .actual_access:  read_only
        .address_space:  global
        .offset:         16
        .size:           8
        .value_kind:     global_buffer
      - .actual_access:  read_only
        .address_space:  global
        .offset:         24
        .size:           8
        .value_kind:     global_buffer
      - .actual_access:  read_only
        .address_space:  global
        .offset:         32
        .size:           8
        .value_kind:     global_buffer
      - .offset:         40
        .size:           8
        .value_kind:     by_value
      - .actual_access:  read_only
        .address_space:  global
        .offset:         48
        .size:           8
        .value_kind:     global_buffer
      - .actual_access:  read_only
        .address_space:  global
        .offset:         56
        .size:           8
        .value_kind:     global_buffer
      - .offset:         64
        .size:           4
        .value_kind:     by_value
      - .actual_access:  read_only
        .address_space:  global
        .offset:         72
        .size:           8
        .value_kind:     global_buffer
      - .actual_access:  read_only
        .address_space:  global
        .offset:         80
        .size:           8
        .value_kind:     global_buffer
      - .actual_access:  read_only
        .address_space:  global
        .offset:         88
        .size:           8
        .value_kind:     global_buffer
      - .actual_access:  write_only
        .address_space:  global
        .offset:         96
        .size:           8
        .value_kind:     global_buffer
    .group_segment_fixed_size: 0
    .kernarg_segment_align: 8
    .kernarg_segment_size: 104
    .language:       OpenCL C
    .language_version:
      - 2
      - 0
    .max_flat_workgroup_size: 64
    .name:           fft_rtc_fwd_len512_factors_8_8_8_wgs_64_tpt_64_halfLds_sp_op_CI_CI_unitstride_sbrr_R2C_dirReg
    .private_segment_fixed_size: 0
    .sgpr_count:     32
    .sgpr_spill_count: 0
    .symbol:         fft_rtc_fwd_len512_factors_8_8_8_wgs_64_tpt_64_halfLds_sp_op_CI_CI_unitstride_sbrr_R2C_dirReg.kd
    .uniform_work_group_size: 1
    .uses_dynamic_stack: false
    .vgpr_count:     37
    .vgpr_spill_count: 0
    .wavefront_size: 64
amdhsa.target:   amdgcn-amd-amdhsa--gfx906
amdhsa.version:
  - 1
  - 2
...

	.end_amdgpu_metadata
